;; amdgpu-corpus repo=ROCm/rocFFT kind=compiled arch=gfx1201 opt=O3
	.text
	.amdgcn_target "amdgcn-amd-amdhsa--gfx1201"
	.amdhsa_code_object_version 6
	.protected	fft_rtc_back_len243_factors_3_3_3_3_3_wgs_216_tpt_27_half_op_CI_CI_sbrc_erc_z_xy_aligned ; -- Begin function fft_rtc_back_len243_factors_3_3_3_3_3_wgs_216_tpt_27_half_op_CI_CI_sbrc_erc_z_xy_aligned
	.globl	fft_rtc_back_len243_factors_3_3_3_3_3_wgs_216_tpt_27_half_op_CI_CI_sbrc_erc_z_xy_aligned
	.p2align	8
	.type	fft_rtc_back_len243_factors_3_3_3_3_3_wgs_216_tpt_27_half_op_CI_CI_sbrc_erc_z_xy_aligned,@function
fft_rtc_back_len243_factors_3_3_3_3_3_wgs_216_tpt_27_half_op_CI_CI_sbrc_erc_z_xy_aligned: ; @fft_rtc_back_len243_factors_3_3_3_3_3_wgs_216_tpt_27_half_op_CI_CI_sbrc_erc_z_xy_aligned
; %bb.0:
	s_load_b256 s[4:11], s[0:1], 0x0
	v_mul_u32_u24_e32 v1, 0x10e, v0
	v_add_nc_u16 v3, v0, 0xd8
	v_mov_b32_e32 v2, 0
	v_add_nc_u16 v4, v0, 0x1b0
	v_add_nc_u16 v5, v0, 0x288
	v_lshrrev_b32_e32 v27, 16, v1
	v_and_b32_e32 v1, 0xffff, v3
	v_add_nc_u16 v6, v0, 0x360
	v_and_b32_e32 v7, 0xffff, v4
	v_and_b32_e32 v8, 0xffff, v5
	v_mul_lo_u16 v10, 0xf3, v27
	v_mul_u32_u24_e32 v1, 0x10e, v1
	v_and_b32_e32 v9, 0xffff, v6
	v_mul_u32_u24_e32 v7, 0x437, v7
	v_mul_u32_u24_e32 v8, 0x437, v8
	v_sub_nc_u16 v10, v0, v10
	v_lshrrev_b32_e32 v28, 16, v1
	v_mul_u32_u24_e32 v9, 0x437, v9
	v_lshrrev_b32_e32 v29, 18, v7
	s_wait_kmcnt 0x0
	s_load_b128 s[16:19], s[8:9], 0x8
	s_clause 0x1
	s_load_b128 s[12:15], s[0:1], 0x58
	s_load_b64 s[20:21], s[0:1], 0x20
	v_mul_lo_u16 v7, 0xf3, v28
	v_lshrrev_b32_e32 v30, 18, v8
	v_mul_lo_u16 v8, 0xf3, v29
	v_lshrrev_b32_e32 v31, 18, v9
	v_and_b32_e32 v32, 0xffff, v10
	v_sub_nc_u16 v3, v3, v7
	v_mul_lo_u16 v9, 0xf3, v30
	v_sub_nc_u16 v4, v4, v8
	s_mov_b32 s9, 0
	v_add_nc_u16 v19, v0, 0x438
	v_and_b32_e32 v33, 0xffff, v3
	v_sub_nc_u16 v5, v5, v9
	v_and_b32_e32 v34, 0xffff, v4
	s_delay_alu instid0(VALU_DEP_4) | instskip(NEXT) | instid1(VALU_DEP_3)
	v_and_b32_e32 v20, 0xffff, v19
	v_and_b32_e32 v35, 0xffff, v5
	s_wait_kmcnt 0x0
	s_add_co_i32 s0, s16, -1
	s_delay_alu instid0(VALU_DEP_2) | instskip(SKIP_1) | instid1(SALU_CYCLE_1)
	v_mul_u32_u24_e32 v20, 0x437, v20
	s_lshr_b32 s8, s0, 3
	s_add_co_i32 s17, s8, 1
	s_delay_alu instid0(VALU_DEP_1)
	v_lshrrev_b32_e32 v37, 18, v20
	s_mul_i32 s18, s17, s18
	s_cvt_f32_u32 s19, s17
	s_cvt_f32_u32 s0, s18
	s_sub_co_i32 s22, 0, s18
	v_add_nc_u16 v20, v0, 0x6c0
	v_rcp_iflag_f32_e32 v7, s19
	v_rcp_iflag_f32_e32 v1, s0
	s_load_b128 s[0:3], s[10:11], 0x0
	s_wait_kmcnt 0x0
	s_load_b32 s3, s[10:11], 0x10
	s_delay_alu instid0(TRANS32_DEP_1) | instskip(SKIP_1) | instid1(VALU_DEP_2)
	v_readfirstlane_b32 s16, v1
	v_mul_lo_u16 v1, 0xf3, v31
	s_mul_f32 s16, s16, 0x4f7ffffe
	s_delay_alu instid0(VALU_DEP_1) | instskip(NEXT) | instid1(SALU_CYCLE_2)
	v_sub_nc_u16 v21, v6, v1
	s_cvt_u32_f32 s16, s16
	v_mad_co_u64_u32 v[3:4], null, s0, v32, 0
	s_delay_alu instid0(SALU_CYCLE_2)
	s_mul_i32 s22, s22, s16
	v_mad_co_u64_u32 v[5:6], null, s0, v33, 0
	s_mul_hi_u32 s19, s16, s22
	v_readfirstlane_b32 s22, v7
	s_wait_alu 0xfffe
	s_add_co_i32 s16, s16, s19
	v_mul_lo_u32 v1, s2, v27
	s_mul_hi_u32 s16, ttmp9, s16
	v_mad_co_u64_u32 v[7:8], null, s0, v34, 0
	s_mul_i32 s19, s16, s18
	s_add_co_i32 s23, s16, 1
	s_wait_alu 0xfffe
	s_sub_co_i32 s19, ttmp9, s19
	s_mul_f32 s22, s22, 0x4f7ffffe
	s_wait_alu 0xfffe
	s_sub_co_i32 s24, s19, s18
	s_cmp_ge_u32 s19, s18
	v_mad_co_u64_u32 v[9:10], null, s0, v35, 0
	s_cselect_b32 s16, s23, s16
	s_cselect_b32 s19, s24, s19
	s_add_co_i32 s23, s16, 1
	s_wait_alu 0xfffe
	s_cmp_ge_u32 s19, s18
	s_cvt_u32_f32 s19, s22
	s_cselect_b32 s16, s23, s16
	s_not_b32 s8, s8
	s_mul_i32 s18, s16, s18
	s_wait_alu 0xfffe
	s_mul_i32 s8, s8, s19
	s_sub_co_i32 s18, ttmp9, s18
	s_mul_hi_u32 s8, s19, s8
	v_mad_co_u64_u32 v[13:14], null, s1, v32, v[4:5]
	s_add_co_i32 s19, s19, s8
	v_lshlrev_b64_e32 v[11:12], 2, v[1:2]
	s_wait_alu 0xfffe
	s_mul_hi_u32 s8, s18, s19
	s_mul_hi_u32 s19, ttmp9, s19
	s_mul_i32 s22, s8, s17
	s_wait_alu 0xfffe
	s_mul_i32 s19, s19, s17
	s_sub_co_i32 s18, s18, s22
	s_add_co_i32 s22, s8, 1
	s_wait_alu 0xfffe
	s_sub_co_i32 s23, s18, s17
	s_cmp_ge_u32 s18, s17
	v_mul_lo_u32 v1, s2, v28
	s_cselect_b32 s8, s22, s8
	s_cselect_b32 s18, s23, s18
	s_add_co_i32 s22, s8, 1
	s_wait_alu 0xfffe
	s_cmp_ge_u32 s18, s17
	v_mad_co_u64_u32 v[14:15], null, s1, v33, v[6:7]
	s_cselect_b32 s22, s22, s8
	s_sub_co_i32 s8, ttmp9, s19
	v_mad_co_u64_u32 v[15:16], null, s1, v34, v[8:9]
	s_sub_co_i32 s18, s8, s17
	s_cmp_ge_u32 s8, s17
	v_mov_b32_e32 v4, v13
	s_wait_alu 0xfffe
	s_cselect_b32 s8, s18, s8
	v_mad_co_u64_u32 v[16:17], null, s1, v35, v[10:11]
	s_sub_co_i32 s18, s8, s17
	s_cmp_ge_u32 s8, s17
	s_mov_b32 s17, s9
	s_wait_alu 0xfffe
	s_cselect_b32 s8, s18, s8
	s_lshl_b64 s[18:19], s[6:7], 3
	v_lshlrev_b64_e32 v[17:18], 2, v[1:2]
	v_mov_b32_e32 v10, v16
	s_wait_alu 0xfffe
	s_add_nc_u64 s[6:7], s[10:11], s[18:19]
	v_mul_lo_u32 v1, s2, v29
	s_load_b64 s[10:11], s[6:7], 0x0
	s_lshl_b32 s6, s8, 3
	v_mov_b32_e32 v6, v14
	s_wait_kmcnt 0x0
	s_mul_i32 s3, s22, s3
	s_mul_i32 s7, s6, s2
	v_lshlrev_b64_e32 v[3:4], 2, v[3:4]
	s_wait_alu 0xfffe
	s_add_co_i32 s8, s7, s3
	v_mov_b32_e32 v8, v15
	s_lshl_b64 s[24:25], s[8:9], 2
	v_lshlrev_b64_e32 v[5:6], 2, v[5:6]
	v_lshlrev_b64_e32 v[13:14], 2, v[1:2]
	v_and_b32_e32 v36, 0xffff, v21
	v_lshlrev_b64_e32 v[7:8], 2, v[7:8]
	v_lshlrev_b64_e32 v[9:10], 2, v[9:10]
	v_and_b32_e32 v21, 0xffff, v20
	v_lshlrev_b32_e32 v33, 2, v33
	v_lshlrev_b32_e32 v35, 2, v35
	s_mov_b32 s7, s9
	s_mul_u64 s[10:11], s[10:11], s[16:17]
	s_delay_alu instid0(SALU_CYCLE_1) | instskip(NEXT) | instid1(SALU_CYCLE_1)
	s_lshl_b64 s[10:11], s[10:11], 2
	s_add_nc_u64 s[10:11], s[12:13], s[10:11]
	s_add_nc_u64 s[12:13], s[20:21], s[18:19]
	;; [unrolled: 1-line block ×3, first 2 shown]
	s_delay_alu instid0(SALU_CYCLE_1)
	v_add_co_u32 v1, vcc_lo, s10, v3
	v_add_co_ci_u32_e32 v4, vcc_lo, s11, v4, vcc_lo
	v_add_co_u32 v5, vcc_lo, s10, v5
	s_wait_alu 0xfffd
	v_add_co_ci_u32_e32 v6, vcc_lo, s11, v6, vcc_lo
	v_add_co_u32 v7, vcc_lo, s10, v7
	s_wait_alu 0xfffd
	;; [unrolled: 3-line block ×3, first 2 shown]
	v_add_co_ci_u32_e32 v4, vcc_lo, v4, v12, vcc_lo
	v_mad_co_u64_u32 v[11:12], null, s0, v36, 0
	v_add_co_u32 v5, vcc_lo, v5, v17
	s_wait_alu 0xfffd
	v_add_co_ci_u32_e32 v6, vcc_lo, v6, v18, vcc_lo
	v_add_co_u32 v7, vcc_lo, v7, v13
	s_wait_alu 0xfffd
	v_add_co_ci_u32_e32 v8, vcc_lo, v8, v14, vcc_lo
	v_mul_lo_u16 v13, 0xf3, v37
	v_mul_lo_u32 v1, s2, v30
	v_add_co_u32 v16, vcc_lo, s10, v9
	v_mov_b32_e32 v9, v12
	v_add_nc_u16 v18, v0, 0x510
	v_sub_nc_u16 v14, v19, v13
	s_wait_alu 0xfffd
	v_add_co_ci_u32_e32 v17, vcc_lo, s11, v10, vcc_lo
	v_mad_co_u64_u32 v[9:10], null, s1, v36, v[9:10]
	v_lshlrev_b64_e32 v[12:13], 2, v[1:2]
	v_and_b32_e32 v1, 0xffff, v18
	v_and_b32_e32 v38, 0xffff, v14
	v_add_nc_u16 v19, v0, 0x5e8
	s_delay_alu instid0(VALU_DEP_4)
	v_add_co_u32 v16, vcc_lo, v16, v12
	v_mov_b32_e32 v12, v9
	v_mul_u32_u24_e32 v10, 0x437, v1
	v_mad_co_u64_u32 v[14:15], null, s0, v38, 0
	s_wait_alu 0xfffd
	v_add_co_ci_u32_e32 v17, vcc_lo, v17, v13, vcc_lo
	v_and_b32_e32 v13, 0xffff, v19
	v_lshrrev_b32_e32 v39, 18, v10
	v_mul_lo_u32 v1, s2, v31
	v_lshlrev_b64_e32 v[9:10], 2, v[11:12]
	v_mov_b32_e32 v11, v15
	v_mul_u32_u24_e32 v13, 0x437, v13
	v_mul_lo_u16 v15, 0xf3, v39
	s_delay_alu instid0(VALU_DEP_3) | instskip(NEXT) | instid1(VALU_DEP_3)
	v_mad_co_u64_u32 v[11:12], null, s1, v38, v[11:12]
	v_lshrrev_b32_e32 v40, 18, v13
	v_mul_u32_u24_e32 v13, 0x437, v21
	s_delay_alu instid0(VALU_DEP_4)
	v_sub_nc_u16 v12, v18, v15
	v_add_co_u32 v18, vcc_lo, s10, v9
	s_wait_alu 0xfffd
	v_add_co_ci_u32_e32 v21, vcc_lo, s11, v10, vcc_lo
	v_lshlrev_b64_e32 v[9:10], 2, v[1:2]
	v_mul_lo_u16 v1, 0xf3, v40
	v_lshrrev_b32_e32 v42, 18, v13
	v_and_b32_e32 v41, 0xffff, v12
	v_mov_b32_e32 v15, v11
	s_delay_alu instid0(VALU_DEP_4) | instskip(NEXT) | instid1(VALU_DEP_4)
	v_sub_nc_u16 v13, v19, v1
	v_mul_lo_u16 v1, 0xf3, v42
	s_delay_alu instid0(VALU_DEP_4) | instskip(SKIP_1) | instid1(VALU_DEP_3)
	v_mad_co_u64_u32 v[11:12], null, s0, v41, 0
	v_add_co_u32 v9, vcc_lo, v18, v9
	v_sub_nc_u16 v18, v20, v1
	v_and_b32_e32 v43, 0xffff, v13
	v_lshlrev_b64_e32 v[13:14], 2, v[14:15]
	v_mul_lo_u32 v1, s2, v37
	s_wait_alu 0xfffd
	v_add_co_ci_u32_e32 v10, vcc_lo, v21, v10, vcc_lo
	v_and_b32_e32 v44, 0xffff, v18
	v_mad_co_u64_u32 v[18:19], null, s0, v43, 0
	v_mad_co_u64_u32 v[20:21], null, s1, v41, v[12:13]
	s_delay_alu instid0(VALU_DEP_3)
	v_mad_co_u64_u32 v[21:22], null, s0, v44, 0
	v_add_co_u32 v23, vcc_lo, s10, v13
	s_wait_alu 0xfffd
	v_add_co_ci_u32_e32 v24, vcc_lo, s11, v14, vcc_lo
	v_lshlrev_b64_e32 v[14:15], 2, v[1:2]
	v_dual_mov_b32 v13, v19 :: v_dual_mov_b32 v12, v20
	v_mul_lo_u32 v1, s2, v39
	v_lshlrev_b32_e32 v34, 2, v34
	s_delay_alu instid0(VALU_DEP_3)
	v_mad_co_u64_u32 v[19:20], null, s1, v43, v[13:14]
	v_mov_b32_e32 v13, v22
	v_add_co_u32 v14, vcc_lo, v23, v14
	v_lshlrev_b64_e32 v[11:12], 2, v[11:12]
	s_wait_alu 0xfffd
	v_add_co_ci_u32_e32 v15, vcc_lo, v24, v15, vcc_lo
	s_delay_alu instid0(VALU_DEP_3)
	v_mad_co_u64_u32 v[25:26], null, s1, v44, v[13:14]
	v_lshlrev_b64_e32 v[23:24], 2, v[1:2]
	v_mul_lo_u32 v1, s2, v40
	v_add_co_u32 v13, vcc_lo, s10, v11
	s_wait_alu 0xfffd
	v_add_co_ci_u32_e32 v20, vcc_lo, s11, v12, vcc_lo
	v_mov_b32_e32 v22, v25
	v_lshlrev_b64_e32 v[11:12], 2, v[18:19]
	v_add_co_u32 v18, vcc_lo, v13, v23
	s_wait_alu 0xfffd
	v_add_co_ci_u32_e32 v19, vcc_lo, v20, v24, vcc_lo
	v_lshlrev_b64_e32 v[23:24], 2, v[1:2]
	v_mul_lo_u32 v1, s2, v42
	v_lshlrev_b64_e32 v[20:21], 2, v[21:22]
	v_add_co_u32 v13, vcc_lo, s10, v11
	s_wait_alu 0xfffd
	v_add_co_ci_u32_e32 v22, vcc_lo, s11, v12, vcc_lo
	v_lshlrev_b32_e32 v36, 2, v36
	s_delay_alu instid0(VALU_DEP_4)
	v_add_co_u32 v25, vcc_lo, s10, v20
	v_lshlrev_b64_e32 v[11:12], 2, v[1:2]
	s_wait_alu 0xfffd
	v_add_co_ci_u32_e32 v26, vcc_lo, s11, v21, vcc_lo
	v_add_co_u32 v20, vcc_lo, v13, v23
	s_wait_alu 0xfffd
	v_add_co_ci_u32_e32 v21, vcc_lo, v22, v24, vcc_lo
	v_add_co_u32 v11, vcc_lo, v25, v11
	s_wait_alu 0xfffd
	v_add_co_ci_u32_e32 v12, vcc_lo, v26, v12, vcc_lo
	s_clause 0x8
	global_load_b32 v1, v[3:4], off
	global_load_b32 v13, v[5:6], off
	;; [unrolled: 1-line block ×9, first 2 shown]
	v_mul_u32_u24_e32 v3, 0x97c, v0
	v_mul_u32_u24_e32 v6, 0x3d0, v27
	;; [unrolled: 1-line block ×5, first 2 shown]
	v_lshrrev_b32_e32 v3, 16, v3
	v_mul_u32_u24_e32 v21, 0x3d0, v31
	v_mul_u32_u24_e32 v23, 0x3d0, v37
	;; [unrolled: 1-line block ×4, first 2 shown]
	v_and_b32_e32 v4, 7, v3
	v_mul_lo_u16 v3, v3, 27
	v_mul_u32_u24_e32 v27, 0x3d0, v42
	v_lshlrev_b32_e32 v37, 2, v38
	v_lshlrev_b32_e32 v38, 2, v41
	v_mul_lo_u16 v4, 0xf4, v4
	v_sub_nc_u16 v18, v0, v3
	v_lshlrev_b32_e32 v39, 2, v43
	v_lshlrev_b32_e32 v40, 2, v44
	v_add3_u32 v12, 0, v12, v33
	v_and_b32_e32 v3, 0xffff, v4
	v_and_b32_e32 v26, 0xffff, v18
	v_lshlrev_b32_e32 v4, 2, v32
	v_and_b32_e32 v28, 0xff, v18
	v_add3_u32 v19, 0, v19, v34
	v_lshlrev_b32_e32 v8, 2, v3
	v_lshlrev_b32_e32 v29, 2, v26
	v_add3_u32 v30, 0, v6, v4
	v_add_nc_u32_e32 v7, 27, v26
	v_mul_lo_u16 v9, 0xab, v28
	v_add_nc_u32_e32 v6, 0, v8
	v_add3_u32 v3, 0, v29, v8
	v_add_nc_u32_e32 v5, 54, v26
	v_add3_u32 v20, 0, v20, v35
	v_add3_u32 v21, 0, v21, v36
	v_add_nc_u32_e32 v4, v6, v29
	s_clause 0x1
	s_load_b128 s[0:3], s[20:21], 0x0
	s_load_b64 s[10:11], s[20:21], 0x10
	v_and_b32_e32 v32, 0xff, v7
	v_add3_u32 v23, 0, v23, v37
	v_add3_u32 v24, 0, v24, v38
	v_add3_u32 v25, 0, v25, v39
	v_add3_u32 v27, 0, v27, v40
	s_load_b64 s[12:13], s[12:13], 0x0
	v_lshrrev_b16 v31, 9, v9
	v_and_b32_e32 v9, 0xff, v5
	v_mul_lo_u16 v41, 0xab, v32
	s_wait_kmcnt 0x0
	s_mov_b32 s3, s9
	v_cmp_gt_u32_e32 vcc_lo, 8, v0
	v_mul_lo_u16 v29, v31, 3
	v_mul_lo_u16 v42, 0xab, v9
	v_lshrrev_b16 v33, 9, v41
	s_wait_loadcnt 0x8
	ds_store_b32 v30, v1
	s_wait_loadcnt 0x7
	ds_store_b32 v12, v13
	;; [unrolled: 2-line block ×9, first 2 shown]
	global_wb scope:SCOPE_SE
	s_wait_dscnt 0x0
	s_barrier_signal -1
	s_barrier_wait -1
	global_inv scope:SCOPE_SE
	ds_load_b32 v19, v4
	ds_load_2addr_b32 v[10:11], v3 offset0:81 offset1:108
	ds_load_2addr_b32 v[12:13], v3 offset0:135 offset1:162
	;; [unrolled: 1-line block ×4, first 2 shown]
	v_lshrrev_b16 v34, 9, v42
	v_sub_nc_u16 v29, v18, v29
	v_mul_lo_u16 v35, v33, 3
	v_lshlrev_b32_e32 v1, 3, v26
	global_wb scope:SCOPE_SE
	s_wait_dscnt 0x0
	v_mul_lo_u16 v36, v34, 3
	v_and_b32_e32 v22, 0xff, v29
	v_sub_nc_u16 v20, v7, v35
	s_barrier_signal -1
	s_barrier_wait -1
	v_sub_nc_u16 v21, v5, v36
	global_inv scope:SCOPE_SE
	v_and_b32_e32 v24, 0xff, v20
	v_add_nc_u32_e32 v20, v3, v1
	s_mul_i32 s8, s10, 27
	v_and_b32_e32 v25, 0xff, v21
	v_lshlrev_b32_e32 v21, 3, v22
	v_pk_add_f16 v27, v19, v10
	v_pk_add_f16 v29, v10, v13
	v_pk_add_f16 v10, v10, v13 neg_lo:[0,1] neg_hi:[0,1]
	v_pk_add_f16 v30, v14, v11
	v_pk_add_f16 v35, v11, v16
	v_pk_add_f16 v11, v11, v16 neg_lo:[0,1] neg_hi:[0,1]
	;; [unrolled: 3-line block ×3, first 2 shown]
	v_pk_fma_f16 v19, v29, 0.5, v19 op_sel_hi:[1,0,1] neg_lo:[1,0,0] neg_hi:[1,0,0]
	v_pk_mul_f16 v10, 0x3aee, v10 op_sel_hi:[0,1]
	v_pk_fma_f16 v14, v35, 0.5, v14 op_sel_hi:[1,0,1] neg_lo:[1,0,0] neg_hi:[1,0,0]
	v_pk_mul_f16 v11, 0x3aee, v11 op_sel_hi:[0,1]
	;; [unrolled: 2-line block ×3, first 2 shown]
	v_pk_add_f16 v13, v27, v13
	v_pk_add_f16 v27, v19, v10 op_sel:[0,1] op_sel_hi:[1,0] neg_lo:[0,1] neg_hi:[0,1]
	v_pk_add_f16 v10, v19, v10 op_sel:[0,1] op_sel_hi:[1,0]
	v_pk_add_f16 v19, v14, v11 op_sel:[0,1] op_sel_hi:[1,0] neg_lo:[0,1] neg_hi:[0,1]
	v_pk_add_f16 v11, v14, v11 op_sel:[0,1] op_sel_hi:[1,0]
	v_pk_add_f16 v14, v36, v17
	v_pk_add_f16 v17, v15, v12 op_sel:[0,1] op_sel_hi:[1,0] neg_lo:[0,1] neg_hi:[0,1]
	v_pk_add_f16 v12, v15, v12 op_sel:[0,1] op_sel_hi:[1,0]
	v_bfi_b32 v15, 0xffff, v10, v27
	v_bfi_b32 v29, 0xffff, v11, v19
	v_lshlrev_b32_e32 v23, 3, v24
	v_bfi_b32 v10, 0xffff, v27, v10
	v_lshlrev_b32_e32 v26, 3, v25
	v_pk_add_f16 v16, v30, v16
	v_bfi_b32 v11, 0xffff, v19, v11
	v_bfi_b32 v19, 0xffff, v17, v12
	;; [unrolled: 1-line block ×3, first 2 shown]
	ds_store_2addr_b32 v20, v15, v29 offset0:2 offset1:83
	ds_store_2addr_b32 v20, v13, v10 offset1:1
	ds_store_2addr_b32 v20, v16, v11 offset0:81 offset1:82
	ds_store_2addr_b32 v20, v14, v19 offset0:162 offset1:163
	ds_store_b32 v20, v12 offset:656
	global_wb scope:SCOPE_SE
	s_wait_dscnt 0x0
	s_barrier_signal -1
	s_barrier_wait -1
	global_inv scope:SCOPE_SE
	s_clause 0x2
	global_load_b64 v[10:11], v21, s[4:5]
	global_load_b64 v[12:13], v23, s[4:5]
	;; [unrolled: 1-line block ×3, first 2 shown]
	v_mul_lo_u16 v16, v28, 57
	v_mul_lo_u16 v19, v32, 57
	;; [unrolled: 1-line block ×3, first 2 shown]
	v_lshlrev_b32_e32 v24, 2, v24
	v_lshlrev_b32_e32 v25, 2, v25
	v_lshrrev_b16 v26, 9, v16
	v_and_b32_e32 v16, 0xffff, v31
	v_lshrrev_b16 v28, 9, v19
	v_lshrrev_b16 v29, 9, v20
	v_lshlrev_b32_e32 v31, 2, v22
	v_mul_lo_u16 v17, v26, 9
	v_mad_u32_u24 v27, v16, 36, 0
	v_mul_lo_u16 v9, v9, 19
	v_mul_lo_u16 v19, v29, 9
	s_mul_i32 s2, s22, s2
	v_sub_nc_u16 v16, v18, v17
	v_and_b32_e32 v17, 0xffff, v33
	v_and_b32_e32 v18, 0xffff, v34
	v_sub_nc_u16 v36, v5, v19
	v_add3_u32 v27, v27, v31, v8
	v_and_b32_e32 v30, 0xff, v16
	v_mul_lo_u16 v16, v28, 9
	v_mad_u32_u24 v32, v17, 36, 0
	v_mad_u32_u24 v33, v18, 36, 0
	v_and_b32_e32 v36, 0xff, v36
	v_lshlrev_b32_e32 v37, 3, v30
	v_sub_nc_u16 v34, v7, v16
	ds_load_b32 v35, v4
	ds_load_2addr_b32 v[16:17], v3 offset0:27 offset1:54
	ds_load_2addr_b32 v[18:19], v3 offset0:189 offset1:216
	ds_load_2addr_b32 v[20:21], v3 offset0:81 offset1:108
	ds_load_2addr_b32 v[22:23], v3 offset0:135 offset1:162
	v_add3_u32 v24, v32, v24, v8
	v_add3_u32 v25, v33, v25, v8
	v_and_b32_e32 v34, 0xff, v34
	v_lshlrev_b32_e32 v38, 3, v36
	global_wb scope:SCOPE_SE
	s_wait_loadcnt_dscnt 0x0
	s_barrier_signal -1
	s_barrier_wait -1
	v_lshlrev_b32_e32 v31, 3, v34
	global_inv scope:SCOPE_SE
	v_lshrrev_b16 v9, 9, v9
	s_wait_alu 0xfffe
	s_lshl_b64 s[2:3], s[2:3], 2
	s_delay_alu instid0(VALU_DEP_1)
	v_mul_lo_u16 v9, v9, 27
	v_lshrrev_b32_e32 v44, 16, v18
	v_lshrrev_b32_e32 v41, 16, v20
	;; [unrolled: 1-line block ×9, first 2 shown]
	v_sub_nc_u16 v9, v5, v9
	v_lshlrev_b32_e32 v5, 3, v5
	v_lshrrev_b32_e32 v46, 16, v10
	v_lshrrev_b32_e32 v47, 16, v11
	;; [unrolled: 1-line block ×6, first 2 shown]
	v_mul_f16_e32 v52, v46, v41
	v_mul_f16_e32 v46, v46, v20
	;; [unrolled: 1-line block ×12, first 2 shown]
	v_fmac_f16_e32 v52, v10, v20
	v_fma_f16 v10, v10, v41, -v46
	v_fmac_f16_e32 v53, v11, v23
	v_fma_f16 v11, v11, v42, -v47
	;; [unrolled: 2-line block ×6, first 2 shown]
	v_add_f16_e32 v19, v52, v53
	v_sub_f16_e32 v20, v10, v11
	v_add_f16_e32 v21, v32, v10
	v_add_f16_e32 v10, v10, v11
	v_add_f16_e32 v40, v54, v55
	v_sub_f16_e32 v41, v12, v13
	v_add_f16_e32 v42, v33, v12
	v_add_f16_e32 v12, v12, v13
	;; [unrolled: 4-line block ×3, first 2 shown]
	v_add_f16_e32 v18, v35, v52
	v_sub_f16_e32 v22, v52, v53
	v_add_f16_e32 v23, v16, v54
	v_fmac_f16_e32 v35, -0.5, v19
	v_fmac_f16_e32 v32, -0.5, v10
	v_sub_f16_e32 v43, v54, v55
	v_add_f16_e32 v44, v17, v56
	v_fma_f16 v16, -0.5, v40, v16
	v_fmac_f16_e32 v33, -0.5, v12
	v_sub_f16_e32 v48, v56, v57
	v_fmac_f16_e32 v17, -0.5, v45
	v_fmac_f16_e32 v39, -0.5, v14
	v_add_f16_e32 v18, v18, v53
	v_add_f16_e32 v11, v21, v11
	;; [unrolled: 1-line block ×4, first 2 shown]
	v_fmamk_f16 v14, v20, 0xbaee, v35
	v_fmamk_f16 v19, v22, 0x3aee, v32
	v_fmac_f16_e32 v35, 0x3aee, v20
	v_fmac_f16_e32 v32, 0xbaee, v22
	v_add_f16_e32 v12, v44, v57
	v_add_f16_e32 v15, v47, v15
	v_fmamk_f16 v20, v41, 0xbaee, v16
	v_fmamk_f16 v21, v43, 0x3aee, v33
	v_fmac_f16_e32 v16, 0x3aee, v41
	v_fmac_f16_e32 v33, 0xbaee, v43
	v_fmamk_f16 v22, v46, 0xbaee, v17
	v_fmamk_f16 v23, v48, 0x3aee, v39
	v_fmac_f16_e32 v17, 0x3aee, v46
	v_fmac_f16_e32 v39, 0xbaee, v48
	v_pack_b32_f16 v11, v18, v11
	v_pack_b32_f16 v10, v10, v13
	;; [unrolled: 1-line block ×9, first 2 shown]
	ds_store_2addr_b32 v27, v11, v13 offset1:3
	ds_store_b32 v27, v14 offset:24
	ds_store_2addr_b32 v24, v10, v15 offset1:3
	ds_store_b32 v24, v16 offset:24
	;; [unrolled: 2-line block ×3, first 2 shown]
	global_wb scope:SCOPE_SE
	s_wait_dscnt 0x0
	s_barrier_signal -1
	s_barrier_wait -1
	global_inv scope:SCOPE_SE
	s_clause 0x2
	global_load_b64 v[10:11], v37, s[4:5] offset:24
	global_load_b64 v[12:13], v31, s[4:5] offset:24
	;; [unrolled: 1-line block ×3, first 2 shown]
	v_and_b32_e32 v16, 0xffff, v26
	v_and_b32_e32 v25, 0xffff, v28
	;; [unrolled: 1-line block ×4, first 2 shown]
	v_lshlrev_b32_e32 v9, 2, v34
	v_mad_u32_u24 v24, 0x6c, v16, 0
	ds_load_b32 v28, v4
	ds_load_2addr_b32 v[16:17], v3 offset0:27 offset1:54
	ds_load_2addr_b32 v[18:19], v3 offset0:189 offset1:216
	;; [unrolled: 1-line block ×4, first 2 shown]
	v_lshlrev_b32_e32 v27, 2, v30
	v_lshlrev_b32_e32 v30, 2, v36
	v_mad_u32_u24 v25, 0x6c, v25, 0
	v_mad_u32_u24 v26, 0x6c, v26, 0
	global_wb scope:SCOPE_SE
	s_wait_loadcnt_dscnt 0x0
	v_add3_u32 v24, v24, v27, v8
	v_lshlrev_b32_e32 v27, 3, v29
	v_add3_u32 v9, v25, v9, v8
	v_add3_u32 v8, v26, v30, v8
	s_barrier_signal -1
	s_barrier_wait -1
	global_inv scope:SCOPE_SE
	v_lshl_add_u32 v6, v29, 2, v6
	v_lshrrev_b32_e32 v35, 16, v18
	v_lshrrev_b32_e32 v32, 16, v20
	;; [unrolled: 1-line block ×15, first 2 shown]
	v_mul_f16_e32 v43, v37, v32
	v_mul_f16_e32 v37, v37, v20
	;; [unrolled: 1-line block ×12, first 2 shown]
	v_fmac_f16_e32 v43, v10, v20
	v_fma_f16 v10, v10, v32, -v37
	v_fmac_f16_e32 v44, v11, v23
	v_fma_f16 v11, v11, v33, -v38
	;; [unrolled: 2-line block ×6, first 2 shown]
	v_add_f16_e32 v19, v43, v44
	v_sub_f16_e32 v20, v10, v11
	v_add_f16_e32 v21, v25, v10
	v_add_f16_e32 v10, v10, v11
	v_add_f16_e32 v31, v45, v46
	v_sub_f16_e32 v32, v12, v13
	v_add_f16_e32 v33, v26, v12
	v_add_f16_e32 v12, v12, v13
	;; [unrolled: 4-line block ×3, first 2 shown]
	v_add_f16_e32 v18, v28, v43
	v_sub_f16_e32 v22, v43, v44
	v_add_f16_e32 v23, v16, v45
	v_fmac_f16_e32 v28, -0.5, v19
	v_fmac_f16_e32 v25, -0.5, v10
	v_sub_f16_e32 v34, v45, v46
	v_add_f16_e32 v35, v17, v47
	v_fma_f16 v16, -0.5, v31, v16
	v_fmac_f16_e32 v26, -0.5, v12
	v_sub_f16_e32 v39, v47, v48
	v_fmac_f16_e32 v17, -0.5, v36
	v_fmac_f16_e32 v30, -0.5, v14
	v_add_f16_e32 v18, v18, v44
	v_add_f16_e32 v11, v21, v11
	;; [unrolled: 1-line block ×4, first 2 shown]
	v_fmamk_f16 v14, v20, 0xbaee, v28
	v_fmamk_f16 v19, v22, 0x3aee, v25
	v_fmac_f16_e32 v28, 0x3aee, v20
	v_fmac_f16_e32 v25, 0xbaee, v22
	v_add_f16_e32 v12, v35, v48
	v_add_f16_e32 v15, v38, v15
	v_fmamk_f16 v20, v32, 0xbaee, v16
	v_fmamk_f16 v21, v34, 0x3aee, v26
	v_fmac_f16_e32 v16, 0x3aee, v32
	v_fmac_f16_e32 v26, 0xbaee, v34
	v_fmamk_f16 v22, v37, 0xbaee, v17
	v_fmamk_f16 v23, v39, 0x3aee, v30
	v_fmac_f16_e32 v17, 0x3aee, v37
	v_fmac_f16_e32 v30, 0xbaee, v39
	v_pack_b32_f16 v11, v18, v11
	v_pack_b32_f16 v10, v10, v13
	;; [unrolled: 1-line block ×9, first 2 shown]
	ds_store_2addr_b32 v24, v11, v13 offset1:9
	ds_store_b32 v24, v14 offset:72
	ds_store_2addr_b32 v9, v10, v15 offset1:9
	ds_store_b32 v9, v16 offset:72
	;; [unrolled: 2-line block ×3, first 2 shown]
	global_wb scope:SCOPE_SE
	s_wait_dscnt 0x0
	s_barrier_signal -1
	s_barrier_wait -1
	global_inv scope:SCOPE_SE
	s_clause 0x1
	global_load_b64 v[8:9], v1, s[4:5] offset:96
	global_load_b64 v[10:11], v27, s[4:5] offset:96
	ds_load_b32 v20, v4
	ds_load_2addr_b32 v[12:13], v3 offset0:27 offset1:54
	ds_load_2addr_b32 v[14:15], v3 offset0:189 offset1:216
	;; [unrolled: 1-line block ×4, first 2 shown]
	v_lshlrev_b32_e32 v21, 3, v7
	global_wb scope:SCOPE_SE
	s_wait_loadcnt_dscnt 0x0
	s_barrier_signal -1
	s_barrier_wait -1
	global_inv scope:SCOPE_SE
	v_lshrrev_b32_e32 v7, 16, v20
	v_lshrrev_b32_e32 v22, 16, v12
	;; [unrolled: 1-line block ×13, first 2 shown]
	s_delay_alu instid0(VALU_DEP_4)
	v_mul_f16_e32 v34, v29, v25
	v_mul_f16_e32 v35, v29, v16
	v_mul_f16_e32 v36, v31, v26
	v_mul_f16_e32 v37, v31, v19
	v_mul_f16_e32 v38, v29, v27
	v_mul_f16_e32 v29, v29, v17
	v_mul_f16_e32 v39, v31, v28
	v_mul_f16_e32 v31, v31, v14
	v_mul_f16_e32 v40, v32, v30
	v_mul_f16_e32 v32, v32, v18
	v_mul_f16_e32 v41, v24, v33
	v_mul_f16_e32 v33, v15, v33
	v_fmac_f16_e32 v34, v8, v16
	v_fma_f16 v16, v8, v25, -v35
	v_fmac_f16_e32 v36, v9, v19
	v_fma_f16 v19, v9, v26, -v37
	;; [unrolled: 2-line block ×6, first 2 shown]
	v_add_f16_e32 v15, v34, v36
	v_sub_f16_e32 v17, v16, v19
	v_add_f16_e32 v18, v7, v16
	v_add_f16_e32 v16, v16, v19
	v_add_f16_e32 v26, v38, v39
	v_sub_f16_e32 v27, v8, v9
	v_add_f16_e32 v28, v22, v8
	v_add_f16_e32 v8, v8, v9
	;; [unrolled: 4-line block ×3, first 2 shown]
	v_add_f16_e32 v14, v20, v34
	v_sub_f16_e32 v24, v34, v36
	v_fmac_f16_e32 v20, -0.5, v15
	v_fmac_f16_e32 v7, -0.5, v16
	v_add_f16_e32 v25, v12, v38
	v_sub_f16_e32 v29, v38, v39
	v_add_f16_e32 v30, v13, v40
	v_fma_f16 v12, -0.5, v26, v12
	v_fmac_f16_e32 v22, -0.5, v8
	v_sub_f16_e32 v34, v40, v41
	v_fmac_f16_e32 v13, -0.5, v31
	v_fmac_f16_e32 v23, -0.5, v10
	v_add_f16_e32 v14, v14, v36
	v_add_f16_e32 v15, v18, v19
	v_fmamk_f16 v10, v17, 0xbaee, v20
	v_fmac_f16_e32 v20, 0x3aee, v17
	v_fmamk_f16 v17, v24, 0x3aee, v7
	v_add_f16_e32 v16, v25, v39
	v_add_f16_e32 v9, v28, v9
	v_fmac_f16_e32 v7, 0xbaee, v24
	v_add_f16_e32 v8, v30, v41
	v_add_f16_e32 v11, v33, v11
	v_fmamk_f16 v18, v27, 0xbaee, v12
	v_fmac_f16_e32 v12, 0x3aee, v27
	v_fmamk_f16 v19, v29, 0x3aee, v22
	v_fmac_f16_e32 v22, 0xbaee, v29
	v_fmamk_f16 v24, v32, 0xbaee, v13
	v_fmamk_f16 v25, v34, 0x3aee, v23
	v_fmac_f16_e32 v13, 0x3aee, v32
	v_fmac_f16_e32 v23, 0xbaee, v34
	v_pack_b32_f16 v14, v14, v15
	v_pack_b32_f16 v10, v10, v17
	;; [unrolled: 1-line block ×9, first 2 shown]
	ds_store_2addr_b32 v3, v14, v10 offset1:27
	ds_store_2addr_b32 v3, v7, v9 offset0:54 offset1:81
	ds_store_2addr_b32 v3, v11, v12 offset0:108 offset1:135
	;; [unrolled: 1-line block ×3, first 2 shown]
	ds_store_b32 v6, v13 offset:864
	global_wb scope:SCOPE_SE
	s_wait_dscnt 0x0
	s_barrier_signal -1
	s_barrier_wait -1
	global_inv scope:SCOPE_SE
	s_clause 0x2
	global_load_b64 v[7:8], v1, s[4:5] offset:312
	global_load_b64 v[9:10], v21, s[4:5] offset:312
	global_load_b64 v[11:12], v5, s[4:5] offset:312
	v_and_b32_e32 v24, 7, v0
	v_lshrrev_b32_e32 v28, 3, v0
	ds_load_b32 v4, v4
	ds_load_2addr_b32 v[30:31], v3 offset0:81 offset1:108
	ds_load_2addr_b32 v[32:33], v3 offset0:27 offset1:54
	;; [unrolled: 1-line block ×4, first 2 shown]
	s_mul_u64 s[4:5], s[12:13], s[16:17]
	global_wb scope:SCOPE_SE
	s_wait_loadcnt_dscnt 0x0
	v_mad_co_u64_u32 v[5:6], null, s0, v24, 0
	v_mul_lo_u32 v1, v28, s10
	v_mad_u32_u24 v0, 0x3d0, v24, 0
	s_barrier_signal -1
	s_barrier_wait -1
	global_inv scope:SCOPE_SE
	v_lshl_add_u32 v38, v28, 2, v0
	v_lshlrev_b64_e32 v[13:14], 2, v[1:2]
	v_add_nc_u32_e32 v1, s8, v1
	v_lshrrev_b32_e32 v42, 16, v30
	v_lshrrev_b32_e32 v44, 16, v31
	s_delay_alu instid0(VALU_DEP_3)
	v_lshlrev_b64_e32 v[15:16], 2, v[1:2]
	v_add_nc_u32_e32 v1, s8, v1
	v_lshrrev_b32_e32 v43, 16, v35
	v_lshrrev_b32_e32 v45, 16, v36
	;; [unrolled: 1-line block ×4, first 2 shown]
	v_lshlrev_b64_e32 v[17:18], 2, v[1:2]
	v_add_nc_u32_e32 v1, s8, v1
	v_lshrrev_b32_e32 v39, 16, v32
	v_lshrrev_b32_e32 v40, 16, v33
	v_mad_co_u64_u32 v[19:20], null, s1, v24, v[6:7]
	s_mul_u64 s[0:1], s[0:1], s[6:7]
	v_lshlrev_b64_e32 v[20:21], 2, v[1:2]
	s_wait_alu 0xfffe
	s_lshl_b64 s[0:1], s[0:1], 2
	v_add_nc_u32_e32 v1, s8, v1
	s_wait_alu 0xfffe
	s_add_nc_u64 s[0:1], s[14:15], s[0:1]
	v_lshrrev_b32_e32 v47, 16, v7
	v_mov_b32_e32 v6, v19
	s_wait_alu 0xfffe
	s_add_nc_u64 s[0:1], s[0:1], s[2:3]
	s_lshl_b64 s[2:3], s[4:5], 2
	v_lshrrev_b32_e32 v48, 16, v8
	s_wait_alu 0xfffe
	s_add_nc_u64 s[0:1], s[0:1], s[2:3]
	v_lshlrev_b64_e32 v[5:6], 2, v[5:6]
	v_lshlrev_b64_e32 v[22:23], 2, v[1:2]
	v_lshrrev_b32_e32 v49, 16, v9
	v_lshrrev_b32_e32 v50, 16, v10
	;; [unrolled: 1-line block ×4, first 2 shown]
	s_wait_alu 0xfffe
	v_add_co_u32 v5, s0, s0, v5
	s_wait_alu 0xf1ff
	v_add_co_ci_u32_e64 v6, s0, s1, v6, s0
	v_mul_f16_e32 v53, v47, v42
	s_delay_alu instid0(VALU_DEP_3) | instskip(SKIP_1) | instid1(VALU_DEP_3)
	v_add_co_u32 v13, s0, v5, v13
	s_wait_alu 0xf1ff
	v_add_co_ci_u32_e64 v14, s0, v6, v14, s0
	v_add_co_u32 v15, s0, v5, v15
	s_wait_alu 0xf1ff
	v_add_co_ci_u32_e64 v16, s0, v6, v16, s0
	;; [unrolled: 3-line block ×3, first 2 shown]
	v_add_co_u32 v19, s0, v5, v20
	v_mul_f16_e32 v47, v47, v30
	v_mul_f16_e32 v54, v48, v43
	v_mul_f16_e32 v48, v48, v35
	s_wait_alu 0xf1ff
	v_add_co_ci_u32_e64 v20, s0, v6, v21, s0
	v_mul_f16_e32 v55, v49, v44
	v_mul_f16_e32 v49, v49, v31
	v_add_co_u32 v21, s0, v5, v22
	v_mul_f16_e32 v56, v50, v45
	v_mul_f16_e32 v50, v50, v36
	s_wait_alu 0xf1ff
	v_add_co_ci_u32_e64 v22, s0, v6, v23, s0
	v_lshrrev_b32_e32 v23, 16, v4
	v_mul_f16_e32 v57, v51, v46
	v_mul_f16_e32 v51, v51, v34
	;; [unrolled: 1-line block ×4, first 2 shown]
	v_fmac_f16_e32 v53, v7, v30
	v_fma_f16 v7, v7, v42, -v47
	v_fmac_f16_e32 v54, v8, v35
	v_fma_f16 v8, v8, v43, -v48
	;; [unrolled: 2-line block ×6, first 2 shown]
	v_add_f16_e32 v31, v53, v54
	v_sub_f16_e32 v34, v7, v8
	v_add_f16_e32 v35, v23, v7
	v_add_f16_e32 v7, v7, v8
	;; [unrolled: 1-line block ×6, first 2 shown]
	v_sub_f16_e32 v42, v9, v10
	v_add_f16_e32 v9, v9, v10
	v_sub_f16_e32 v36, v53, v54
	v_sub_f16_e32 v47, v11, v12
	v_add_f16_e32 v48, v40, v11
	v_add_f16_e32 v11, v11, v12
	v_fmac_f16_e32 v4, -0.5, v31
	v_fmac_f16_e32 v23, -0.5, v7
	v_add_nc_u32_e32 v1, s8, v1
	v_add_f16_e32 v45, v33, v57
	v_add_f16_e32 v46, v57, v58
	;; [unrolled: 1-line block ×6, first 2 shown]
	v_fma_f16 v31, -0.5, v41, v32
	v_sub_f16_e32 v44, v55, v56
	v_fmac_f16_e32 v39, -0.5, v9
	v_fmac_f16_e32 v40, -0.5, v11
	v_fmamk_f16 v11, v34, 0xbaee, v4
	v_fmac_f16_e32 v4, 0x3aee, v34
	v_fmamk_f16 v32, v36, 0x3aee, v23
	v_fmac_f16_e32 v23, 0xbaee, v36
	v_lshlrev_b64_e32 v[24:25], 2, v[1:2]
	v_add_f16_e32 v9, v45, v58
	v_add_f16_e32 v12, v48, v12
	v_sub_f16_e32 v49, v57, v58
	v_fmac_f16_e32 v33, -0.5, v46
	v_pack_b32_f16 v8, v30, v8
	v_pack_b32_f16 v7, v7, v10
	v_fmamk_f16 v34, v42, 0xbaee, v31
	v_add_nc_u32_e32 v1, s8, v1
	v_fmamk_f16 v35, v44, 0x3aee, v39
	v_pack_b32_f16 v4, v4, v23
	v_fmac_f16_e32 v31, 0x3aee, v42
	v_pack_b32_f16 v9, v9, v12
	v_pack_b32_f16 v10, v11, v32
	v_fmac_f16_e32 v39, 0xbaee, v44
	v_fmamk_f16 v36, v47, 0xbaee, v33
	v_fmac_f16_e32 v33, 0x3aee, v47
	v_fmamk_f16 v37, v49, 0x3aee, v40
	v_fmac_f16_e32 v40, 0xbaee, v49
	ds_store_2addr_b32 v3, v8, v7 offset1:27
	ds_store_b16 v3, v34 offset:432
	ds_store_b16 v3, v35 offset:434
	ds_store_b32 v3, v4 offset:648
	ds_store_b16 v3, v31 offset:756
	ds_store_b16 v3, v39 offset:758
	ds_store_2addr_b32 v3, v9, v10 offset0:54 offset1:81
	ds_store_b16 v3, v36 offset:540
	ds_store_b16 v3, v37 offset:542
	;; [unrolled: 1-line block ×4, first 2 shown]
	global_wb scope:SCOPE_SE
	s_wait_dscnt 0x0
	s_barrier_signal -1
	s_barrier_wait -1
	global_inv scope:SCOPE_SE
	ds_load_2addr_b32 v[3:4], v38 offset1:27
	ds_load_2addr_b32 v[7:8], v38 offset0:54 offset1:81
	ds_load_2addr_b32 v[9:10], v38 offset0:108 offset1:135
	v_add_co_u32 v11, s0, v5, v24
	ds_load_2addr_b32 v[23:24], v38 offset0:162 offset1:189
	ds_load_b32 v30, v38 offset:864
	v_lshlrev_b64_e32 v[26:27], 2, v[1:2]
	v_add_nc_u32_e32 v1, s8, v1
	s_wait_alu 0xf1ff
	v_add_co_ci_u32_e64 v12, s0, v6, v25, s0
	s_delay_alu instid0(VALU_DEP_2) | instskip(SKIP_4) | instid1(VALU_DEP_3)
	v_lshlrev_b64_e32 v[28:29], 2, v[1:2]
	v_add_nc_u32_e32 v1, s8, v1
	v_add_co_u32 v25, s0, v5, v26
	s_wait_alu 0xf1ff
	v_add_co_ci_u32_e64 v26, s0, v6, v27, s0
	v_lshlrev_b64_e32 v[1:2], 2, v[1:2]
	v_add_co_u32 v27, s0, v5, v28
	s_wait_alu 0xf1ff
	v_add_co_ci_u32_e64 v28, s0, v6, v29, s0
	s_delay_alu instid0(VALU_DEP_3)
	v_add_co_u32 v1, s0, v5, v1
	s_wait_alu 0xf1ff
	v_add_co_ci_u32_e64 v2, s0, v6, v2, s0
	s_wait_dscnt 0x4
	s_clause 0x1
	global_store_b32 v[13:14], v3, off
	global_store_b32 v[15:16], v4, off
	s_wait_dscnt 0x3
	s_clause 0x1
	global_store_b32 v[17:18], v7, off
	global_store_b32 v[19:20], v8, off
	;; [unrolled: 4-line block ×4, first 2 shown]
	s_wait_dscnt 0x0
	global_store_b32 v[1:2], v30, off
	s_and_saveexec_b32 s0, vcc_lo
	s_cbranch_execz .LBB0_2
; %bb.1:
	ds_load_b32 v2, v0 offset:972
	s_mul_i32 s8, s10, 0xf3
	s_wait_alu 0xfffe
	s_lshl_b64 s[0:1], s[8:9], 2
	s_wait_alu 0xfffe
	v_add_co_u32 v0, vcc_lo, v5, s0
	s_wait_alu 0xfffd
	v_add_co_ci_u32_e32 v1, vcc_lo, s1, v6, vcc_lo
	s_wait_dscnt 0x0
	global_store_b32 v[0:1], v2, off
.LBB0_2:
	s_nop 0
	s_sendmsg sendmsg(MSG_DEALLOC_VGPRS)
	s_endpgm
	.section	.rodata,"a",@progbits
	.p2align	6, 0x0
	.amdhsa_kernel fft_rtc_back_len243_factors_3_3_3_3_3_wgs_216_tpt_27_half_op_CI_CI_sbrc_erc_z_xy_aligned
		.amdhsa_group_segment_fixed_size 0
		.amdhsa_private_segment_fixed_size 0
		.amdhsa_kernarg_size 104
		.amdhsa_user_sgpr_count 2
		.amdhsa_user_sgpr_dispatch_ptr 0
		.amdhsa_user_sgpr_queue_ptr 0
		.amdhsa_user_sgpr_kernarg_segment_ptr 1
		.amdhsa_user_sgpr_dispatch_id 0
		.amdhsa_user_sgpr_private_segment_size 0
		.amdhsa_wavefront_size32 1
		.amdhsa_uses_dynamic_stack 0
		.amdhsa_enable_private_segment 0
		.amdhsa_system_sgpr_workgroup_id_x 1
		.amdhsa_system_sgpr_workgroup_id_y 0
		.amdhsa_system_sgpr_workgroup_id_z 0
		.amdhsa_system_sgpr_workgroup_info 0
		.amdhsa_system_vgpr_workitem_id 0
		.amdhsa_next_free_vgpr 59
		.amdhsa_next_free_sgpr 26
		.amdhsa_reserve_vcc 1
		.amdhsa_float_round_mode_32 0
		.amdhsa_float_round_mode_16_64 0
		.amdhsa_float_denorm_mode_32 3
		.amdhsa_float_denorm_mode_16_64 3
		.amdhsa_fp16_overflow 0
		.amdhsa_workgroup_processor_mode 1
		.amdhsa_memory_ordered 1
		.amdhsa_forward_progress 0
		.amdhsa_round_robin_scheduling 0
		.amdhsa_exception_fp_ieee_invalid_op 0
		.amdhsa_exception_fp_denorm_src 0
		.amdhsa_exception_fp_ieee_div_zero 0
		.amdhsa_exception_fp_ieee_overflow 0
		.amdhsa_exception_fp_ieee_underflow 0
		.amdhsa_exception_fp_ieee_inexact 0
		.amdhsa_exception_int_div_zero 0
	.end_amdhsa_kernel
	.text
.Lfunc_end0:
	.size	fft_rtc_back_len243_factors_3_3_3_3_3_wgs_216_tpt_27_half_op_CI_CI_sbrc_erc_z_xy_aligned, .Lfunc_end0-fft_rtc_back_len243_factors_3_3_3_3_3_wgs_216_tpt_27_half_op_CI_CI_sbrc_erc_z_xy_aligned
                                        ; -- End function
	.section	.AMDGPU.csdata,"",@progbits
; Kernel info:
; codeLenInByte = 6520
; NumSgprs: 28
; NumVgprs: 59
; ScratchSize: 0
; MemoryBound: 0
; FloatMode: 240
; IeeeMode: 1
; LDSByteSize: 0 bytes/workgroup (compile time only)
; SGPRBlocks: 3
; VGPRBlocks: 7
; NumSGPRsForWavesPerEU: 28
; NumVGPRsForWavesPerEU: 59
; Occupancy: 16
; WaveLimiterHint : 1
; COMPUTE_PGM_RSRC2:SCRATCH_EN: 0
; COMPUTE_PGM_RSRC2:USER_SGPR: 2
; COMPUTE_PGM_RSRC2:TRAP_HANDLER: 0
; COMPUTE_PGM_RSRC2:TGID_X_EN: 1
; COMPUTE_PGM_RSRC2:TGID_Y_EN: 0
; COMPUTE_PGM_RSRC2:TGID_Z_EN: 0
; COMPUTE_PGM_RSRC2:TIDIG_COMP_CNT: 0
	.text
	.p2alignl 7, 3214868480
	.fill 96, 4, 3214868480
	.type	__hip_cuid_14bceb4595a13472,@object ; @__hip_cuid_14bceb4595a13472
	.section	.bss,"aw",@nobits
	.globl	__hip_cuid_14bceb4595a13472
__hip_cuid_14bceb4595a13472:
	.byte	0                               ; 0x0
	.size	__hip_cuid_14bceb4595a13472, 1

	.ident	"AMD clang version 19.0.0git (https://github.com/RadeonOpenCompute/llvm-project roc-6.4.0 25133 c7fe45cf4b819c5991fe208aaa96edf142730f1d)"
	.section	".note.GNU-stack","",@progbits
	.addrsig
	.addrsig_sym __hip_cuid_14bceb4595a13472
	.amdgpu_metadata
---
amdhsa.kernels:
  - .args:
      - .actual_access:  read_only
        .address_space:  global
        .offset:         0
        .size:           8
        .value_kind:     global_buffer
      - .offset:         8
        .size:           8
        .value_kind:     by_value
      - .actual_access:  read_only
        .address_space:  global
        .offset:         16
        .size:           8
        .value_kind:     global_buffer
      - .actual_access:  read_only
        .address_space:  global
        .offset:         24
        .size:           8
        .value_kind:     global_buffer
      - .actual_access:  read_only
        .address_space:  global
        .offset:         32
        .size:           8
        .value_kind:     global_buffer
      - .offset:         40
        .size:           8
        .value_kind:     by_value
      - .actual_access:  read_only
        .address_space:  global
        .offset:         48
        .size:           8
        .value_kind:     global_buffer
      - .actual_access:  read_only
        .address_space:  global
        .offset:         56
        .size:           8
        .value_kind:     global_buffer
      - .offset:         64
        .size:           4
        .value_kind:     by_value
      - .actual_access:  read_only
        .address_space:  global
        .offset:         72
        .size:           8
        .value_kind:     global_buffer
      - .actual_access:  read_only
        .address_space:  global
        .offset:         80
        .size:           8
        .value_kind:     global_buffer
      - .actual_access:  read_only
        .address_space:  global
        .offset:         88
        .size:           8
        .value_kind:     global_buffer
      - .actual_access:  write_only
        .address_space:  global
        .offset:         96
        .size:           8
        .value_kind:     global_buffer
    .group_segment_fixed_size: 0
    .kernarg_segment_align: 8
    .kernarg_segment_size: 104
    .language:       OpenCL C
    .language_version:
      - 2
      - 0
    .max_flat_workgroup_size: 216
    .name:           fft_rtc_back_len243_factors_3_3_3_3_3_wgs_216_tpt_27_half_op_CI_CI_sbrc_erc_z_xy_aligned
    .private_segment_fixed_size: 0
    .sgpr_count:     28
    .sgpr_spill_count: 0
    .symbol:         fft_rtc_back_len243_factors_3_3_3_3_3_wgs_216_tpt_27_half_op_CI_CI_sbrc_erc_z_xy_aligned.kd
    .uniform_work_group_size: 1
    .uses_dynamic_stack: false
    .vgpr_count:     59
    .vgpr_spill_count: 0
    .wavefront_size: 32
    .workgroup_processor_mode: 1
amdhsa.target:   amdgcn-amd-amdhsa--gfx1201
amdhsa.version:
  - 1
  - 2
...

	.end_amdgpu_metadata
